;; amdgpu-corpus repo=ROCm/rocFFT kind=compiled arch=gfx950 opt=O3
	.text
	.amdgcn_target "amdgcn-amd-amdhsa--gfx950"
	.amdhsa_code_object_version 6
	.protected	transpose_c2r_even_pre_tile32x16_sp_CP_CI_grid1D ; -- Begin function transpose_c2r_even_pre_tile32x16_sp_CP_CI_grid1D
	.globl	transpose_c2r_even_pre_tile32x16_sp_CP_CI_grid1D
	.p2align	8
	.type	transpose_c2r_even_pre_tile32x16_sp_CP_CI_grid1D,@function
transpose_c2r_even_pre_tile32x16_sp_CP_CI_grid1D: ; @transpose_c2r_even_pre_tile32x16_sp_CP_CI_grid1D
; %bb.0:
	s_load_dwordx2 s[16:17], s[0:1], 0x78
	s_load_dwordx2 s[6:7], s[0:1], 0x0
	;; [unrolled: 1-line block ×3, first 2 shown]
	s_mov_b32 s9, 0
	s_waitcnt lgkmcnt(0)
	s_mul_i32 s3, s17, s16
	v_cvt_f32_u32_e32 v1, s3
	s_sub_i32 s8, 0, s3
	v_cvt_f32_u32_e32 v2, s17
	v_rcp_iflag_f32_e32 v1, v1
	v_rcp_iflag_f32_e32 v2, v2
	v_mul_f32_e32 v1, 0x4f7ffffe, v1
	v_cvt_u32_f32_e32 v1, v1
	v_mul_f32_e32 v2, 0x4f7ffffe, v2
	v_cvt_u32_f32_e32 v2, v2
	v_readfirstlane_b32 s10, v1
	s_mul_i32 s8, s8, s10
	s_mul_hi_u32 s8, s10, s8
	s_add_i32 s10, s10, s8
	s_mul_hi_u32 s8, s2, s10
	s_mul_i32 s10, s8, s3
	s_sub_i32 s10, s2, s10
	s_add_i32 s11, s8, 1
	s_sub_i32 s12, s10, s3
	s_cmp_ge_u32 s10, s3
	s_cselect_b32 s8, s11, s8
	s_cselect_b32 s10, s12, s10
	s_add_i32 s11, s8, 1
	s_cmp_ge_u32 s10, s3
	s_cselect_b32 s8, s11, s8
	s_sub_i32 s10, 0, s17
	s_cmp_lg_u64 s[6:7], 2
	s_cselect_b64 s[14:15], -1, 0
	s_cmp_eq_u64 s[6:7], 2
	s_load_dwordx2 s[12:13], s[4:5], 0x0
	s_cselect_b64 s[6:7], -1, 0
	s_and_b64 vcc, s[6:7], exec
	v_readfirstlane_b32 s18, v2
	s_cselect_b32 s6, 8, 16
	s_mul_i32 s10, s10, s18
	s_add_u32 s6, s4, s6
	s_mul_i32 s3, s8, s3
	s_mul_hi_u32 s19, s18, s10
	s_addc_u32 s7, s5, 0
	s_waitcnt lgkmcnt(0)
	s_mov_b64 s[10:11], s[12:13]
	s_cbranch_vccnz .LBB0_2
; %bb.1:
	s_load_dwordx2 s[4:5], s[4:5], 0x8
	s_waitcnt lgkmcnt(0)
	s_mul_i32 s10, s4, s13
	s_mul_hi_u32 s11, s4, s12
	s_mul_i32 s5, s5, s12
	s_add_i32 s10, s11, s10
	s_add_i32 s11, s10, s5
	s_mul_i32 s10, s4, s12
.LBB0_2:
	s_sub_i32 s16, s2, s3
	s_add_i32 s3, s18, s19
	s_load_dwordx2 s[18:19], s[0:1], 0x40
	s_lshl_b32 s8, s8, 5
	v_and_b32_e32 v2, 0x3ff, v0
	v_mov_b32_e32 v3, 0
	v_lshl_add_u64 v[4:5], s[8:9], 0, v[2:3]
	v_or_b32_e32 v7, s13, v5
	v_mov_b32_e32 v6, v3
	v_cmp_ne_u64_e32 vcc, 0, v[6:7]
                                        ; implicit-def: $vgpr6_vgpr7
	s_and_saveexec_b64 s[4:5], vcc
	s_xor_b64 s[20:21], exec, s[4:5]
	s_cbranch_execz .LBB0_4
; %bb.3:
	v_cvt_f32_u32_e32 v1, s12
	v_cvt_f32_u32_e32 v6, s13
	s_sub_u32 s4, 0, s12
	s_subb_u32 s5, 0, s13
	v_fmamk_f32 v1, v6, 0x4f800000, v1
	v_rcp_f32_e32 v1, v1
	s_nop 0
	v_mul_f32_e32 v1, 0x5f7ffffc, v1
	v_mul_f32_e32 v6, 0x2f800000, v1
	v_trunc_f32_e32 v6, v6
	v_fmamk_f32 v1, v6, 0xcf800000, v1
	v_cvt_u32_f32_e32 v10, v6
	v_cvt_u32_f32_e32 v1, v1
	v_mul_lo_u32 v6, s4, v10
	v_mul_hi_u32 v8, s4, v1
	v_mul_lo_u32 v7, s5, v1
	v_add_u32_e32 v8, v8, v6
	v_mul_lo_u32 v11, s4, v1
	v_add_u32_e32 v12, v8, v7
	v_mul_hi_u32 v6, v1, v11
	v_mul_hi_u32 v9, v1, v12
	v_mul_lo_u32 v8, v1, v12
	v_mov_b32_e32 v7, v3
	v_lshl_add_u64 v[6:7], v[6:7], 0, v[8:9]
	v_mul_hi_u32 v9, v10, v11
	v_mul_lo_u32 v11, v10, v11
	v_add_co_u32_e32 v6, vcc, v6, v11
	v_mul_hi_u32 v8, v10, v12
	s_nop 0
	v_addc_co_u32_e32 v6, vcc, v7, v9, vcc
	v_mov_b32_e32 v7, v3
	s_nop 0
	v_addc_co_u32_e32 v9, vcc, 0, v8, vcc
	v_mul_lo_u32 v8, v10, v12
	v_lshl_add_u64 v[6:7], v[6:7], 0, v[8:9]
	v_add_co_u32_e32 v1, vcc, v1, v6
	v_mul_lo_u32 v8, s4, v1
	s_nop 0
	v_addc_co_u32_e32 v10, vcc, v10, v7, vcc
	v_mul_lo_u32 v6, s4, v10
	v_mul_hi_u32 v7, s4, v1
	v_add_u32_e32 v6, v7, v6
	v_mul_lo_u32 v7, s5, v1
	v_add_u32_e32 v11, v6, v7
	v_mul_hi_u32 v13, v10, v8
	v_mul_lo_u32 v14, v10, v8
	v_mul_hi_u32 v7, v1, v11
	v_mul_lo_u32 v6, v1, v11
	v_mul_hi_u32 v8, v1, v8
	v_mov_b32_e32 v9, v3
	v_lshl_add_u64 v[6:7], v[8:9], 0, v[6:7]
	v_add_co_u32_e32 v6, vcc, v6, v14
	v_mul_hi_u32 v12, v10, v11
	s_nop 0
	v_addc_co_u32_e32 v6, vcc, v7, v13, vcc
	v_mul_lo_u32 v8, v10, v11
	s_nop 0
	v_addc_co_u32_e32 v9, vcc, 0, v12, vcc
	v_mov_b32_e32 v7, v3
	v_lshl_add_u64 v[6:7], v[6:7], 0, v[8:9]
	v_add_co_u32_e32 v1, vcc, v1, v6
	v_mul_hi_u32 v8, v4, v1
	s_nop 0
	v_addc_co_u32_e32 v10, vcc, v10, v7, vcc
	v_mad_u64_u32 v[6:7], s[4:5], v4, v10, 0
	v_mov_b32_e32 v9, v3
	v_lshl_add_u64 v[6:7], v[8:9], 0, v[6:7]
	v_mul_lo_u32 v1, v5, v1
	v_add_co_u32_e32 v1, vcc, v6, v1
	v_mad_u64_u32 v[8:9], s[4:5], v5, v10, 0
	s_nop 0
	v_addc_co_u32_e32 v6, vcc, 0, v7, vcc
	v_mov_b32_e32 v7, v3
	s_nop 0
	v_addc_co_u32_e32 v9, vcc, 0, v9, vcc
	v_lshl_add_u64 v[6:7], v[6:7], 0, v[8:9]
	v_mul_lo_u32 v1, s13, v6
	v_mul_lo_u32 v3, s12, v7
	v_mad_u64_u32 v[8:9], s[4:5], s12, v6, 0
	v_add3_u32 v1, v9, v3, v1
	v_sub_u32_e32 v3, v5, v1
	v_mov_b32_e32 v9, s13
	v_sub_co_u32_e32 v12, vcc, v4, v8
	v_lshl_add_u64 v[10:11], v[6:7], 0, 1
	s_nop 0
	v_subb_co_u32_e64 v3, s[4:5], v3, v9, vcc
	v_subrev_co_u32_e64 v8, s[4:5], s12, v12
	v_subb_co_u32_e32 v1, vcc, v5, v1, vcc
	s_nop 0
	v_subbrev_co_u32_e64 v3, s[4:5], 0, v3, s[4:5]
	v_cmp_le_u32_e64 s[4:5], s13, v3
	v_cmp_le_u32_e32 vcc, s13, v1
	s_nop 0
	v_cndmask_b32_e64 v9, 0, -1, s[4:5]
	v_cmp_le_u32_e64 s[4:5], s12, v8
	s_nop 1
	v_cndmask_b32_e64 v8, 0, -1, s[4:5]
	v_cmp_eq_u32_e64 s[4:5], s13, v3
	s_nop 1
	v_cndmask_b32_e64 v3, v9, v8, s[4:5]
	v_lshl_add_u64 v[8:9], v[6:7], 0, 2
	v_cmp_ne_u32_e64 s[4:5], 0, v3
	s_nop 1
	v_cndmask_b32_e64 v3, v11, v9, s[4:5]
	v_cndmask_b32_e64 v9, 0, -1, vcc
	v_cmp_le_u32_e32 vcc, s12, v12
	s_nop 1
	v_cndmask_b32_e64 v11, 0, -1, vcc
	v_cmp_eq_u32_e32 vcc, s13, v1
	s_nop 1
	v_cndmask_b32_e32 v1, v9, v11, vcc
	v_cmp_ne_u32_e32 vcc, 0, v1
	v_cndmask_b32_e64 v1, v10, v8, s[4:5]
	s_nop 0
	v_cndmask_b32_e32 v7, v7, v3, vcc
	v_cndmask_b32_e32 v6, v6, v1, vcc
.LBB0_4:
	s_or_saveexec_b64 s[4:5], s[20:21]
	s_load_dwordx2 s[22:23], s[0:1], 0x48
	s_load_dwordx2 s[24:25], s[6:7], 0x0
	s_mul_hi_u32 s9, s16, s3
	s_mul_hi_u32 s3, s2, s3
	s_xor_b64 exec, exec, s[4:5]
	s_cbranch_execz .LBB0_6
; %bb.5:
	v_cvt_f32_u32_e32 v1, s12
	s_sub_i32 s6, 0, s12
	v_rcp_iflag_f32_e32 v1, v1
	s_nop 0
	v_mul_f32_e32 v1, 0x4f7ffffe, v1
	v_cvt_u32_f32_e32 v1, v1
	v_mul_lo_u32 v3, s6, v1
	v_mul_hi_u32 v3, v1, v3
	v_add_u32_e32 v1, v1, v3
	v_mul_hi_u32 v1, v4, v1
	v_mul_lo_u32 v3, v1, s12
	v_sub_u32_e32 v3, v4, v3
	v_add_u32_e32 v6, 1, v1
	v_subrev_u32_e32 v7, s12, v3
	v_cmp_le_u32_e32 vcc, s12, v3
	s_nop 1
	v_cndmask_b32_e32 v3, v3, v7, vcc
	v_cndmask_b32_e32 v1, v1, v6, vcc
	v_add_u32_e32 v6, 1, v1
	v_cmp_le_u32_e32 vcc, s12, v3
	v_mov_b32_e32 v7, 0
	s_nop 0
	v_cndmask_b32_e32 v6, v1, v6, vcc
.LBB0_6:
	s_or_b64 exec, exec, s[4:5]
	s_waitcnt lgkmcnt(0)
	s_load_dwordx4 s[4:7], s[18:19], 0x0
	s_andn2_b64 vcc, exec, s[14:15]
	s_waitcnt lgkmcnt(0)
	s_mov_b64 s[20:21], s[6:7]
	s_cbranch_vccnz .LBB0_8
; %bb.7:
	s_load_dwordx2 s[20:21], s[18:19], 0x10
.LBB0_8:
	v_mul_lo_u32 v1, v7, s12
	v_mul_lo_u32 v3, v6, s13
	v_mad_u64_u32 v[8:9], s[12:13], v6, s12, 0
	v_add3_u32 v1, v9, v3, v1
	v_sub_co_u32_e32 v3, vcc, v4, v8
	v_mov_b64_e32 v[12:13], s[10:11]
	s_nop 0
	v_subb_co_u32_e32 v11, vcc, v5, v1, vcc
	v_mul_lo_u32 v1, s5, v3
	v_mul_lo_u32 v10, s4, v11
	v_mad_u64_u32 v[8:9], s[4:5], s4, v3, 0
	v_add3_u32 v9, v9, v10, v1
	v_mad_u64_u32 v[8:9], s[4:5], s6, v6, v[8:9]
	s_mul_i32 s4, s9, s17
	s_sub_i32 s4, s16, s4
	v_mul_lo_u32 v1, s6, v7
	s_add_i32 s5, s9, 1
	s_sub_i32 s6, s4, s17
	s_cmp_ge_u32 s4, s17
	s_cselect_b32 s5, s5, s9
	s_cselect_b32 s4, s6, s4
	s_add_i32 s6, s5, 1
	s_cmp_ge_u32 s4, s17
	s_cselect_b32 s9, s6, s5
	s_add_u32 s4, s24, -2
	s_addc_u32 s5, s25, -1
	v_mul_lo_u32 v10, s7, v6
	v_cmp_lt_u64_e64 s[6:7], s[4:5], 32
	s_lshr_b64 s[4:5], s[4:5], 1
	s_and_b64 s[6:7], s[6:7], exec
	s_cselect_b32 s14, s5, 0
	s_cselect_b32 s15, s4, 16
	s_mul_i32 s4, s14, s9
	s_mul_hi_u32 s5, s15, s9
	s_add_i32 s7, s5, s4
	s_mul_i32 s6, s15, s9
	s_add_u32 s4, s6, 1
	s_addc_u32 s5, s7, 0
	s_lshr_b64 s[18:19], s[24:25], 1
	s_add_u32 s8, s8, 32
	s_addc_u32 s9, 0, 0
	v_cmp_lt_u64_e32 vcc, s[8:9], v[12:13]
	s_and_b64 s[12:13], vcc, exec
	s_cselect_b32 s27, s9, s11
	s_cselect_b32 s26, s8, s10
	s_add_u32 s8, s4, s15
	s_addc_u32 s9, s5, s14
	v_mov_b64_e32 v[12:13], s[18:19]
	s_sub_u32 s10, s18, s4
	v_cmp_lt_u64_e32 vcc, s[8:9], v[12:13]
	s_subb_u32 s11, s19, s5
	s_and_b64 s[8:9], vcc, exec
	s_mul_i32 s3, s3, s17
	s_cselect_b32 s31, s14, s11
	s_cselect_b32 s30, s15, s10
	s_sub_i32 s2, s2, s3
	s_sub_i32 s3, s2, s17
	s_load_dwordx4 s[12:15], s[0:1], 0x8
	s_load_dwordx2 s[8:9], s[0:1], 0x18
	s_cmp_ge_u32 s2, s17
	s_cselect_b32 s2, s3, s2
	s_sub_i32 s3, s2, s17
	s_cmp_ge_u32 s2, s17
	s_cselect_b32 s35, s3, s2
	s_waitcnt lgkmcnt(0)
	s_mul_i32 s2, s35, s9
	s_mul_hi_u32 s3, s35, s8
	s_mul_i32 s36, s35, s8
	s_load_dwordx4 s[8:11], s[22:23], 0x0
	s_load_dwordx2 s[28:29], s[22:23], 0x10
	v_add3_u32 v9, v10, v9, v1
	v_bfe_u32 v0, v0, 10, 10
	v_mov_b32_e32 v1, 0
	s_add_i32 s37, s3, s2
	s_add_u32 s33, s24, -1
	v_cmp_gt_u64_e64 s[2:3], s[26:27], v[4:5]
	v_cmp_gt_u64_e32 vcc, s[30:31], v[0:1]
	s_addc_u32 s34, s25, -1
	s_and_b64 s[22:23], s[2:3], vcc
	v_lshl_add_u64 v[12:13], v[8:9], 0, s[36:37]
	v_lshl_add_u64 v[4:5], s[4:5], 0, v[0:1]
	v_lshlrev_b32_e32 v16, 3, v0
	s_and_saveexec_b64 s[4:5], s[22:23]
	s_cbranch_execz .LBB0_10
; %bb.9:
	v_mad_u64_u32 v[8:9], s[24:25], s20, v4, v[12:13]
	v_mul_lo_u32 v10, s20, v5
	v_mul_lo_u32 v14, s21, v4
	v_add3_u32 v9, v14, v9, v10
	v_lshlrev_b64 v[8:9], 2, v[8:9]
	v_lshl_add_u64 v[14:15], s[12:13], 0, v[8:9]
	v_lshl_add_u64 v[8:9], s[14:15], 0, v[8:9]
	global_load_dword v14, v[14:15], off
	v_sub_co_u32_e32 v10, vcc, s33, v4
	global_load_dword v15, v[8:9], off
	v_mov_b32_e32 v8, s34
	v_subb_co_u32_e32 v17, vcc, v8, v5, vcc
	v_mad_u64_u32 v[8:9], s[24:25], s20, v10, v[12:13]
	v_mul_lo_u32 v17, s20, v17
	v_mul_lo_u32 v10, s21, v10
	v_add3_u32 v9, v10, v9, v17
	v_lshlrev_b64 v[8:9], 2, v[8:9]
	v_lshl_add_u64 v[18:19], s[12:13], 0, v[8:9]
	v_lshl_add_u64 v[8:9], s[14:15], 0, v[8:9]
	global_load_dword v18, v[18:19], off
	s_nop 0
	global_load_dword v19, v[8:9], off
	v_lshl_add_u32 v8, v2, 7, v16
	s_waitcnt vmcnt(0)
	ds_write2st64_b64 v8, v[14:15], v[18:19] offset1:8
.LBB0_10:
	s_or_b64 exec, exec, s[4:5]
	s_cmp_lt_u32 s16, s17
	s_load_dwordx2 s[24:25], s[0:1], 0x20
	s_load_dwordx2 s[26:27], s[0:1], 0x30
	s_cselect_b64 s[16:17], -1, 0
	v_cmp_eq_u32_e64 s[4:5], 0, v0
	s_and_b64 s[30:31], s[4:5], s[16:17]
	s_xor_b64 s[30:31], s[30:31], -1
	s_xor_b64 s[36:37], s[2:3], -1
	s_or_b64 s[30:31], s[30:31], s[36:37]
	s_xor_b64 s[36:37], s[30:31], -1
	v_mov_b32_e32 v9, 0x7fc00000
	v_mov_b32_e32 v8, 0x7fc00000
                                        ; implicit-def: $vgpr10
                                        ; implicit-def: $vgpr14
	s_and_saveexec_b64 s[30:31], s[36:37]
	s_cbranch_execz .LBB0_14
; %bb.11:
	v_lshl_add_u64 v[14:15], v[12:13], 2, s[12:13]
	global_load_dword v10, v[14:15], off
	s_bitcmp1_b32 s33, 0
	s_cselect_b64 s[12:13], -1, 0
	s_and_b64 vcc, exec, s[12:13]
	v_mov_b32_e32 v8, 0x7fc00000
	v_mov_b32_e32 v9, 0x7fc00000
	s_cbranch_vccnz .LBB0_13
; %bb.12:
	s_mul_i32 s13, s21, s18
	s_mul_i32 s36, s20, s19
	v_mov_b32_e32 v8, s18
	s_mul_hi_u32 s12, s20, s18
	s_add_i32 s38, s36, s13
	v_mad_u64_u32 v[8:9], s[36:37], s20, v8, v[12:13]
	s_add_i32 s13, s38, s12
	s_mul_i32 s12, s20, s18
	v_add_u32_e32 v9, s38, v9
	v_lshl_add_u64 v[12:13], s[12:13], 2, v[14:15]
	v_lshl_add_u64 v[8:9], v[8:9], 2, s[14:15]
	global_load_dword v12, v[12:13], off
	s_mov_b32 s12, 2.0
	global_load_dword v13, v[8:9], off
	s_mov_b32 s13, -2.0
	s_waitcnt vmcnt(0)
	v_pk_mul_f32 v[8:9], v[12:13], s[12:13]
.LBB0_13:
	s_mul_i32 s12, s20, s34
	s_mul_hi_u32 s13, s20, s33
	s_add_i32 s12, s13, s12
	s_mul_i32 s13, s21, s33
	s_add_i32 s13, s12, s13
	s_mul_i32 s12, s20, s33
	v_lshl_add_u64 v[12:13], s[12:13], 2, v[14:15]
	global_load_dword v14, v[12:13], off
.LBB0_14:
	s_or_b64 exec, exec, s[30:31]
	s_load_dwordx2 s[0:1], s[0:1], 0x28
	s_waitcnt lgkmcnt(0)
	v_mul_lo_u32 v15, s11, v3
	v_mul_lo_u32 v11, s10, v11
	v_mad_u64_u32 v[12:13], s[10:11], s10, v3, 0
	v_add3_u32 v13, v13, v11, v15
	v_mad_u64_u32 v[12:13], s[10:11], s28, v6, v[12:13]
	v_mul_lo_u32 v3, s28, v7
	v_mul_lo_u32 v6, s29, v6
	s_mul_i32 s1, s35, s1
	s_mul_hi_u32 s10, s35, s0
	s_and_b64 s[2:3], s[4:5], s[2:3]
	v_add3_u32 v13, v6, v13, v3
	s_add_i32 s1, s10, s1
	s_mul_i32 s0, s35, s0
	s_and_b64 s[4:5], s[16:17], s[2:3]
	s_barrier
	s_and_saveexec_b64 s[2:3], s[4:5]
	s_cbranch_execz .LBB0_17
; %bb.15:
	s_lshl_b64 s[4:5], s[0:1], 3
	s_add_u32 s4, s4, s24
	s_addc_u32 s5, s5, s25
	s_bitcmp1_b32 s33, 0
	s_waitcnt vmcnt(0)
	v_pk_add_f32 v[18:19], v[10:11], v[14:15]
	v_pk_add_f32 v[10:11], v[10:11], v[14:15] neg_lo:[0,1] neg_hi:[0,1]
	v_lshl_add_u64 v[6:7], v[12:13], 3, s[4:5]
	s_cselect_b64 s[4:5], -1, 0
	v_mov_b32_e32 v19, v10
	s_and_b64 vcc, exec, s[4:5]
	global_store_dwordx2 v[6:7], v[18:19], off
	s_cbranch_vccnz .LBB0_17
; %bb.16:
	s_mul_i32 s4, s8, s19
	s_mul_hi_u32 s5, s8, s18
	s_add_i32 s4, s5, s4
	s_mul_i32 s5, s9, s18
	s_add_i32 s5, s4, s5
	s_mul_i32 s4, s8, s18
	v_lshl_add_u64 v[6:7], s[4:5], 3, v[6:7]
	global_store_dwordx2 v[6:7], v[8:9], off
.LBB0_17:
	s_or_b64 exec, exec, s[2:3]
	s_and_saveexec_b64 s[2:3], s[22:23]
	s_cbranch_execz .LBB0_19
; %bb.18:
	v_lshl_add_u64 v[0:1], s[6:7], 0, v[0:1]
	v_lshl_add_u64 v[0:1], v[0:1], 3, s[26:27]
	global_load_dwordx2 v[6:7], v[0:1], off offset:8
	v_lshl_add_u32 v0, v2, 7, v16
	ds_read2st64_b64 v[0:3], v0 offset1:8
	s_waitcnt vmcnt(2)
	v_mul_lo_u32 v10, s9, v4
	v_mul_lo_u32 v11, s8, v5
	v_mad_u64_u32 v[8:9], s[2:3], s8, v4, 0
	s_lshl_b64 s[0:1], s[0:1], 3
	s_waitcnt vmcnt(1)
	v_mov_b32_e32 v14, s34
	v_sub_co_u32_e32 v4, vcc, s33, v4
	v_add3_u32 v9, v9, v11, v10
	s_add_u32 s0, s0, s24
	v_subb_co_u32_e32 v10, vcc, v14, v5, vcc
	v_mul_lo_u32 v14, s9, v4
	v_mad_u64_u32 v[4:5], s[2:3], s8, v4, 0
	s_addc_u32 s1, s1, s25
	v_mul_lo_u32 v15, s8, v10
	v_lshl_add_u64 v[10:11], v[12:13], 3, s[0:1]
	v_add3_u32 v5, v5, v15, v14
	v_lshl_add_u64 v[8:9], v[8:9], 3, v[10:11]
	v_lshl_add_u64 v[4:5], v[4:5], 3, v[10:11]
	s_waitcnt lgkmcnt(0)
	v_pk_add_f32 v[10:11], v[2:3], v[0:1] op_sel:[1,1] op_sel_hi:[0,0]
	v_pk_add_f32 v[0:1], v[0:1], v[2:3] op_sel:[1,1] op_sel_hi:[0,0] neg_lo:[0,1] neg_hi:[0,1]
	v_mov_b32_e32 v2, v10
	v_mov_b32_e32 v3, v1
	;; [unrolled: 1-line block ×5, first 2 shown]
	s_waitcnt vmcnt(0)
	v_pk_mul_f32 v[16:17], v[2:3], v[6:7] op_sel:[0,1]
	v_pk_fma_f32 v[0:1], v[2:3], v[6:7], v[0:1] op_sel:[0,1,0]
	v_mov_b32_e32 v13, v16
	v_pk_fma_f32 v[10:11], v[6:7], v[10:11], v[0:1] op_sel:[0,0,1] op_sel_hi:[1,1,0] neg_lo:[1,0,0] neg_hi:[1,0,0]
	v_pk_fma_f32 v[0:1], v[6:7], v[2:3], v[0:1] op_sel:[0,0,1] op_sel_hi:[0,1,0]
	v_mov_b32_e32 v14, v17
	v_mov_b32_e32 v11, v1
	v_pk_add_f32 v[0:1], v[12:13], v[14:15] neg_lo:[0,1] neg_hi:[0,1]
	global_store_dwordx2 v[8:9], v[10:11], off
	v_pk_fma_f32 v[0:1], v[6:7], v[2:3], v[0:1] op_sel_hi:[0,1,1]
	global_store_dwordx2 v[4:5], v[0:1], off
.LBB0_19:
	s_endpgm
	.section	.rodata,"a",@progbits
	.p2align	6, 0x0
	.amdhsa_kernel transpose_c2r_even_pre_tile32x16_sp_CP_CI_grid1D
		.amdhsa_group_segment_fixed_size 8192
		.amdhsa_private_segment_fixed_size 0
		.amdhsa_kernarg_size 128
		.amdhsa_user_sgpr_count 2
		.amdhsa_user_sgpr_dispatch_ptr 0
		.amdhsa_user_sgpr_queue_ptr 0
		.amdhsa_user_sgpr_kernarg_segment_ptr 1
		.amdhsa_user_sgpr_dispatch_id 0
		.amdhsa_user_sgpr_kernarg_preload_length 0
		.amdhsa_user_sgpr_kernarg_preload_offset 0
		.amdhsa_user_sgpr_private_segment_size 0
		.amdhsa_uses_dynamic_stack 0
		.amdhsa_enable_private_segment 0
		.amdhsa_system_sgpr_workgroup_id_x 1
		.amdhsa_system_sgpr_workgroup_id_y 0
		.amdhsa_system_sgpr_workgroup_id_z 0
		.amdhsa_system_sgpr_workgroup_info 0
		.amdhsa_system_vgpr_workitem_id 1
		.amdhsa_next_free_vgpr 20
		.amdhsa_next_free_sgpr 39
		.amdhsa_accum_offset 20
		.amdhsa_reserve_vcc 1
		.amdhsa_float_round_mode_32 0
		.amdhsa_float_round_mode_16_64 0
		.amdhsa_float_denorm_mode_32 3
		.amdhsa_float_denorm_mode_16_64 3
		.amdhsa_dx10_clamp 1
		.amdhsa_ieee_mode 1
		.amdhsa_fp16_overflow 0
		.amdhsa_tg_split 0
		.amdhsa_exception_fp_ieee_invalid_op 0
		.amdhsa_exception_fp_denorm_src 0
		.amdhsa_exception_fp_ieee_div_zero 0
		.amdhsa_exception_fp_ieee_overflow 0
		.amdhsa_exception_fp_ieee_underflow 0
		.amdhsa_exception_fp_ieee_inexact 0
		.amdhsa_exception_int_div_zero 0
	.end_amdhsa_kernel
	.text
.Lfunc_end0:
	.size	transpose_c2r_even_pre_tile32x16_sp_CP_CI_grid1D, .Lfunc_end0-transpose_c2r_even_pre_tile32x16_sp_CP_CI_grid1D
                                        ; -- End function
	.section	.AMDGPU.csdata,"",@progbits
; Kernel info:
; codeLenInByte = 2568
; NumSgprs: 45
; NumVgprs: 20
; NumAgprs: 0
; TotalNumVgprs: 20
; ScratchSize: 0
; MemoryBound: 1
; FloatMode: 240
; IeeeMode: 1
; LDSByteSize: 8192 bytes/workgroup (compile time only)
; SGPRBlocks: 5
; VGPRBlocks: 2
; NumSGPRsForWavesPerEU: 45
; NumVGPRsForWavesPerEU: 20
; AccumOffset: 20
; Occupancy: 8
; WaveLimiterHint : 1
; COMPUTE_PGM_RSRC2:SCRATCH_EN: 0
; COMPUTE_PGM_RSRC2:USER_SGPR: 2
; COMPUTE_PGM_RSRC2:TRAP_HANDLER: 0
; COMPUTE_PGM_RSRC2:TGID_X_EN: 1
; COMPUTE_PGM_RSRC2:TGID_Y_EN: 0
; COMPUTE_PGM_RSRC2:TGID_Z_EN: 0
; COMPUTE_PGM_RSRC2:TIDIG_COMP_CNT: 1
; COMPUTE_PGM_RSRC3_GFX90A:ACCUM_OFFSET: 4
; COMPUTE_PGM_RSRC3_GFX90A:TG_SPLIT: 0
	.text
	.p2alignl 6, 3212836864
	.fill 256, 4, 3212836864
	.type	__hip_cuid_8b2df0269a035c9b,@object ; @__hip_cuid_8b2df0269a035c9b
	.section	.bss,"aw",@nobits
	.globl	__hip_cuid_8b2df0269a035c9b
__hip_cuid_8b2df0269a035c9b:
	.byte	0                               ; 0x0
	.size	__hip_cuid_8b2df0269a035c9b, 1

	.ident	"AMD clang version 19.0.0git (https://github.com/RadeonOpenCompute/llvm-project roc-6.4.0 25133 c7fe45cf4b819c5991fe208aaa96edf142730f1d)"
	.section	".note.GNU-stack","",@progbits
	.addrsig
	.addrsig_sym __hip_cuid_8b2df0269a035c9b
	.amdgpu_metadata
---
amdhsa.kernels:
  - .agpr_count:     0
    .args:
      - .offset:         0
        .size:           8
        .value_kind:     by_value
      - .actual_access:  read_only
        .address_space:  global
        .offset:         8
        .size:           8
        .value_kind:     global_buffer
      - .actual_access:  read_only
        .address_space:  global
        .offset:         16
        .size:           8
        .value_kind:     global_buffer
      - .offset:         24
        .size:           8
        .value_kind:     by_value
      - .actual_access:  write_only
        .address_space:  global
        .offset:         32
        .size:           8
        .value_kind:     global_buffer
      - .offset:         40
        .size:           8
        .value_kind:     by_value
      - .actual_access:  read_only
        .address_space:  global
        .offset:         48
        .size:           8
        .value_kind:     global_buffer
      - .actual_access:  read_only
        .address_space:  global
        .offset:         56
        .size:           8
        .value_kind:     global_buffer
      - .actual_access:  read_only
        .address_space:  global
        .offset:         64
        .size:           8
        .value_kind:     global_buffer
      - .actual_access:  read_only
        .address_space:  global
        .offset:         72
        .size:           8
        .value_kind:     global_buffer
      - .actual_access:  read_only
        .address_space:  global
        .offset:         80
        .size:           8
        .value_kind:     global_buffer
      - .actual_access:  read_only
        .address_space:  global
        .offset:         88
        .size:           8
        .value_kind:     global_buffer
      - .offset:         96
        .size:           4
        .value_kind:     by_value
      - .actual_access:  read_only
        .address_space:  global
        .offset:         104
        .size:           8
        .value_kind:     global_buffer
      - .actual_access:  read_only
        .address_space:  global
        .offset:         112
        .size:           8
        .value_kind:     global_buffer
      - .offset:         120
        .size:           4
        .value_kind:     by_value
      - .offset:         124
        .size:           4
        .value_kind:     by_value
    .group_segment_fixed_size: 8192
    .kernarg_segment_align: 8
    .kernarg_segment_size: 128
    .language:       OpenCL C
    .language_version:
      - 2
      - 0
    .max_flat_workgroup_size: 512
    .name:           transpose_c2r_even_pre_tile32x16_sp_CP_CI_grid1D
    .private_segment_fixed_size: 0
    .sgpr_count:     45
    .sgpr_spill_count: 0
    .symbol:         transpose_c2r_even_pre_tile32x16_sp_CP_CI_grid1D.kd
    .uniform_work_group_size: 1
    .uses_dynamic_stack: false
    .vgpr_count:     20
    .vgpr_spill_count: 0
    .wavefront_size: 64
amdhsa.target:   amdgcn-amd-amdhsa--gfx950
amdhsa.version:
  - 1
  - 2
...

	.end_amdgpu_metadata
